;; amdgpu-corpus repo=zjin-lcf/HeCBench kind=compiled arch=gfx1250 opt=O3
	.amdgcn_target "amdgcn-amd-amdhsa--gfx1250"
	.amdhsa_code_object_version 6
	.section	.text._Z21sampleMultinomialOnceIffEvPiiiPKT_S3_ii,"axG",@progbits,_Z21sampleMultinomialOnceIffEvPiiiPKT_S3_ii,comdat
	.protected	_Z21sampleMultinomialOnceIffEvPiiiPKT_S3_ii ; -- Begin function _Z21sampleMultinomialOnceIffEvPiiiPKT_S3_ii
	.globl	_Z21sampleMultinomialOnceIffEvPiiiPKT_S3_ii
	.p2align	8
	.type	_Z21sampleMultinomialOnceIffEvPiiiPKT_S3_ii,@function
_Z21sampleMultinomialOnceIffEvPiiiPKT_S3_ii: ; @_Z21sampleMultinomialOnceIffEvPiiiPKT_S3_ii
; %bb.0:
	s_load_b64 s[16:17], s[0:1], 0x8
	s_bfe_u32 s2, ttmp6, 0x4000c
	s_and_b32 s3, ttmp6, 15
	s_add_co_i32 s2, s2, 1
	s_getreg_b32 s4, hwreg(HW_REG_IB_STS2, 6, 4)
	s_mul_i32 s2, ttmp9, s2
	s_delay_alu instid0(SALU_CYCLE_1)
	s_add_co_i32 s3, s3, s2
	s_cmp_eq_u32 s4, 0
	s_cselect_b32 s18, ttmp9, s3
	s_wait_kmcnt 0x0
	s_cmp_ge_i32 s18, s16
	s_cbranch_scc1 .LBB0_48
; %bb.1:
	s_load_b96 s[12:14], s[0:1], 0x20
	v_mbcnt_lo_u32_b32 v2, -1, 0
	s_clause 0x1
	s_load_b128 s[8:11], s[0:1], 0x10
	s_load_b64 s[20:21], s[0:1], 0x0
	v_dual_mov_b32 v12, 0 :: v_dual_lshlrev_b32 v9, 2, v0
	v_dual_lshrrev_b32 v4, 3, v0 :: v_dual_bitop2_b32 v3, 7, v2 bitop3:0x40
	s_add_nc_u64 s[22:23], s[0:1], 40
	s_wait_xcnt 0x0
	s_movk_i32 s1, 0x400
	s_add_co_i32 s15, s17, -1
	v_cmp_gt_i32_e64 s2, s17, v0
	v_cmp_ne_u32_e32 vcc_lo, 7, v3
	v_cmp_eq_u32_e64 s0, 0, v2
	v_and_or_b32 v4, 0x7c, v4, s1
	v_cmp_gt_u32_e64 s1, 32, v0
	v_lshl_or_b32 v5, v3, 2, 0x400
	v_add_co_ci_u32_e64 v6, null, 0, v2, vcc_lo
	v_cmp_gt_u32_e32 vcc_lo, 6, v3
	v_mov_b32_e32 v1, 0x7c
	s_wait_kmcnt 0x0
	s_mul_i32 s5, s18, s12
	v_lshlrev_b32_e32 v6, 2, v6
	v_mad_u32 v10, v0, s13, s5
	v_cndmask_b32_e64 v7, 0, 2, vcc_lo
	v_lshl_or_b32 v8, v2, 2, 16
	v_cmp_eq_u32_e64 s3, 0, v0
	v_cmp_ne_u32_e64 s4, 0, v0
	v_dual_add_nc_u32 v11, -4, v9 :: v_dual_mov_b32 v13, 1
	v_add_lshl_u32 v7, v7, v2, 2
	s_mul_i32 s6, s13, s15
	s_mul_i32 s24, s14, s12
	s_add_co_i32 s25, s5, s6
	s_branch .LBB0_3
.LBB0_2:                                ;   in Loop: Header=BB0_3 Depth=1
	s_wait_xcnt 0x0
	s_or_b32 exec_lo, exec_lo, s5
	v_add_nc_u32_e32 v10, s24, v10
	s_add_co_i32 s18, s14, s18
	s_add_co_i32 s25, s25, s24
	s_cmp_ge_i32 s18, s16
	s_cbranch_scc1 .LBB0_48
.LBB0_3:                                ; =>This Loop Header: Depth=1
                                        ;     Child Loop BB0_5 Depth 2
                                        ;     Child Loop BB0_18 Depth 2
                                        ;       Child Loop BB0_23 Depth 3
                                        ;       Child Loop BB0_31 Depth 3
                                        ;     Child Loop BB0_38 Depth 2
	s_wait_dscnt 0x0
	v_mov_b32_e32 v2, 0
	s_and_saveexec_b32 s5, s2
	s_cbranch_execz .LBB0_7
; %bb.4:                                ;   in Loop: Header=BB0_3 Depth=1
	s_load_b32 s6, s[22:23], 0xc
	v_dual_mov_b32 v2, 0 :: v_dual_mov_b32 v3, v10
	v_mov_b32_e32 v14, v0
	s_mov_b32 s7, 0
	s_wait_kmcnt 0x0
	s_and_b32 s6, s6, 0xffff
	s_delay_alu instid0(SALU_CYCLE_1)
	s_mul_i32 s19, s13, s6
.LBB0_5:                                ;   Parent Loop BB0_3 Depth=1
                                        ; =>  This Inner Loop Header: Depth=2
	global_load_b32 v15, v3, s[10:11] scale_offset
	s_wait_xcnt 0x0
	v_dual_add_nc_u32 v14, s6, v14 :: v_dual_add_nc_u32 v3, s19, v3
	s_delay_alu instid0(VALU_DEP_1)
	v_cmp_le_i32_e32 vcc_lo, s17, v14
	s_or_b32 s7, vcc_lo, s7
	s_wait_loadcnt 0x0
	v_add_f32_e32 v2, v2, v15
	s_and_not1_b32 exec_lo, exec_lo, s7
	s_cbranch_execnz .LBB0_5
; %bb.6:                                ;   in Loop: Header=BB0_3 Depth=1
	s_or_b32 exec_lo, exec_lo, s7
.LBB0_7:                                ;   in Loop: Header=BB0_3 Depth=1
	s_delay_alu instid0(SALU_CYCLE_1) | instskip(NEXT) | instid1(VALU_DEP_1)
	s_or_b32 exec_lo, exec_lo, s5
	v_mov_b32_dpp v3, v2 quad_perm:[1,0,3,2] row_mask:0xf bank_mask:0xf
	s_delay_alu instid0(VALU_DEP_1) | instskip(NEXT) | instid1(VALU_DEP_1)
	v_add_f32_e32 v2, v2, v3
	v_mov_b32_dpp v3, v2 quad_perm:[2,3,0,1] row_mask:0xf bank_mask:0xf
	s_delay_alu instid0(VALU_DEP_1) | instskip(NEXT) | instid1(VALU_DEP_1)
	v_add_f32_e32 v2, v2, v3
	v_mov_b32_dpp v3, v2 row_ror:4 row_mask:0xf bank_mask:0xf
	s_delay_alu instid0(VALU_DEP_1) | instskip(NEXT) | instid1(VALU_DEP_1)
	v_add_f32_e32 v2, v2, v3
	v_mov_b32_dpp v3, v2 row_ror:8 row_mask:0xf bank_mask:0xf
	s_delay_alu instid0(VALU_DEP_1)
	v_add_f32_e32 v2, v2, v3
	ds_swizzle_b32 v3, v2 offset:swizzle(BROADCAST,32,15)
	s_wait_dscnt 0x0
	v_add_f32_e32 v2, v2, v3
	ds_bpermute_b32 v2, v1, v2
	s_and_saveexec_b32 s5, s0
	s_cbranch_execz .LBB0_9
; %bb.8:                                ;   in Loop: Header=BB0_3 Depth=1
	s_wait_dscnt 0x0
	ds_store_b32 v4, v2
.LBB0_9:                                ;   in Loop: Header=BB0_3 Depth=1
	s_or_b32 exec_lo, exec_lo, s5
	s_wait_dscnt 0x0
	s_barrier_signal -1
	s_barrier_wait -1
	s_and_saveexec_b32 s5, s1
	s_cbranch_execz .LBB0_11
; %bb.10:                               ;   in Loop: Header=BB0_3 Depth=1
	ds_load_b32 v2, v5
	s_wait_dscnt 0x0
	ds_bpermute_b32 v3, v6, v2
	s_wait_dscnt 0x0
	v_add_f32_e32 v2, v2, v3
	ds_bpermute_b32 v3, v7, v2
	s_wait_dscnt 0x0
	v_add_f32_e32 v2, v2, v3
	;; [unrolled: 3-line block ×3, first 2 shown]
.LBB0_11:                               ;   in Loop: Header=BB0_3 Depth=1
	s_or_b32 exec_lo, exec_lo, s5
	s_and_saveexec_b32 s5, s3
	s_cbranch_execz .LBB0_13
; %bb.12:                               ;   in Loop: Header=BB0_3 Depth=1
	s_ashr_i32 s19, s18, 31
	s_delay_alu instid0(SALU_CYCLE_1) | instskip(NEXT) | instid1(SALU_CYCLE_1)
	s_lshl_b64 s[6:7], s[18:19], 2
	s_add_nc_u64 s[6:7], s[8:9], s[6:7]
	s_load_b32 s6, s[6:7], 0x0
	s_wait_kmcnt 0x0
	v_mov_b32_e32 v3, s6
	ds_store_b32 v12, v12 offset:1056
	ds_store_b64 v12, v[2:3]
.LBB0_13:                               ;   in Loop: Header=BB0_3 Depth=1
	s_or_b32 exec_lo, exec_lo, s5
	s_wait_dscnt 0x0
	s_barrier_signal -1
	s_barrier_wait -1
	ds_load_b64 v[2:3], v12
	s_wait_dscnt 0x0
	s_barrier_signal -1
	s_barrier_wait -1
	v_cmp_neq_f32_e32 vcc_lo, 0, v2
	s_cbranch_vccz .LBB0_47
; %bb.14:                               ;   in Loop: Header=BB0_3 Depth=1
	s_load_b32 s5, s[22:23], 0xc
	ds_store_b8 v12, v12 offset:1060
	s_wait_kmcnt 0x0
	s_and_b32 s19, s5, 0xffff
	s_delay_alu instid0(SALU_CYCLE_1)
	s_cvt_f32_u32 s5, s19
	s_wait_xcnt 0x0
	s_sub_co_i32 s6, 0, s19
	s_add_co_i32 s7, s15, s19
	v_rcp_iflag_f32_e32 v14, s5
	v_nop
	s_delay_alu instid0(TRANS32_DEP_1) | instskip(SKIP_1) | instid1(SALU_CYCLE_3)
	v_readfirstlane_b32 s5, v14
	s_mul_f32 s5, s5, 0x4f7ffffe
	s_cvt_u32_f32 s5, s5
	s_delay_alu instid0(SALU_CYCLE_3) | instskip(NEXT) | instid1(SALU_CYCLE_1)
	s_mul_i32 s6, s6, s5
	s_mul_hi_u32 s6, s5, s6
	s_delay_alu instid0(SALU_CYCLE_1) | instskip(NEXT) | instid1(SALU_CYCLE_1)
	s_add_co_i32 s5, s5, s6
	s_mul_hi_u32 s5, s7, s5
	s_delay_alu instid0(SALU_CYCLE_1) | instskip(NEXT) | instid1(SALU_CYCLE_1)
	s_mul_i32 s6, s5, s19
	s_sub_co_i32 s6, s7, s6
	s_add_co_i32 s7, s5, 1
	s_sub_co_i32 s26, s6, s19
	s_cmp_ge_u32 s6, s19
	s_cselect_b32 s5, s7, s5
	s_cselect_b32 s6, s26, s6
	s_add_co_i32 s7, s5, 1
	s_cmp_ge_u32 s6, s19
	s_cselect_b32 s26, s7, s5
	s_mov_b32 s5, 0
	s_cmp_lt_i32 s26, 1
	s_cbranch_scc1 .LBB0_34
; %bb.15:                               ;   in Loop: Header=BB0_3 Depth=1
	s_cmp_gt_u32 s19, 1
	s_mul_i32 s28, s18, s12
	s_cselect_b32 s27, -1, 0
	s_lshl_b32 s5, s19, 2
	s_mov_b32 s29, 0
	s_add_co_i32 s5, s5, -4
	s_delay_alu instid0(SALU_CYCLE_1)
	v_dual_mov_b32 v14, 0 :: v_dual_mov_b32 v15, s5
	s_branch .LBB0_18
.LBB0_16:                               ;   in Loop: Header=BB0_18 Depth=2
	s_or_b32 exec_lo, exec_lo, s7
	ds_store_b8 v12, v13 offset:1060
.LBB0_17:                               ;   in Loop: Header=BB0_18 Depth=2
	s_or_b32 exec_lo, exec_lo, s5
	ds_load_b32 v16, v15
	s_wait_dscnt 0x0
	s_barrier_signal -1
	s_barrier_wait -1
	ds_load_u8 v17, v12 offset:1060
	s_add_co_i32 s29, s29, 1
	s_delay_alu instid0(SALU_CYCLE_1)
	s_cmp_ge_i32 s29, s26
	s_cselect_b32 s6, -1, 0
	v_add_f32_e32 v14, v14, v16
	s_wait_dscnt 0x0
	v_readfirstlane_b32 s5, v17
	s_bitcmp1_b32 s5, 0
	s_cselect_b32 s5, -1, 0
	s_delay_alu instid0(SALU_CYCLE_1) | instskip(NEXT) | instid1(SALU_CYCLE_1)
	s_or_b32 s6, s6, s5
	s_and_b32 vcc_lo, exec_lo, s6
	s_cbranch_vccnz .LBB0_34
.LBB0_18:                               ;   Parent Loop BB0_3 Depth=1
                                        ; =>  This Loop Header: Depth=2
                                        ;       Child Loop BB0_23 Depth 3
                                        ;       Child Loop BB0_31 Depth 3
	v_mad_u32 v16, s29, s19, v0
	v_mov_b32_e32 v17, 0
	s_delay_alu instid0(VALU_DEP_2)
	v_cmp_gt_i32_e64 s5, s17, v16
	s_and_saveexec_b32 s6, s5
	s_cbranch_execz .LBB0_20
; %bb.19:                               ;   in Loop: Header=BB0_18 Depth=2
	v_mad_u32 v17, v16, s13, s28
	global_load_b32 v17, v17, s[10:11] scale_offset
	s_wait_loadcnt 0x0
	v_div_scale_f32 v18, null, v2, v2, v17
	s_delay_alu instid0(VALU_DEP_1) | instskip(SKIP_1) | instid1(TRANS32_DEP_1)
	v_rcp_f32_e32 v19, v18
	v_nop
	v_fma_f32 v20, -v18, v19, 1.0
	s_delay_alu instid0(VALU_DEP_1) | instskip(SKIP_1) | instid1(VALU_DEP_1)
	v_fmac_f32_e32 v19, v20, v19
	v_div_scale_f32 v20, vcc_lo, v17, v2, v17
	v_mul_f32_e32 v21, v20, v19
	s_delay_alu instid0(VALU_DEP_1) | instskip(NEXT) | instid1(VALU_DEP_1)
	v_fma_f32 v22, -v18, v21, v20
	v_fmac_f32_e32 v21, v22, v19
	s_delay_alu instid0(VALU_DEP_1) | instskip(NEXT) | instid1(VALU_DEP_1)
	v_fma_f32 v18, -v18, v21, v20
	v_div_fmas_f32 v18, v18, v19, v21
	s_wait_xcnt 0x0
	s_delay_alu instid0(VALU_DEP_1)
	v_div_fixup_f32 v17, v18, v2, v17
.LBB0_20:                               ;   in Loop: Header=BB0_18 Depth=2
	s_or_b32 exec_lo, exec_lo, s6
	s_delay_alu instid0(SALU_CYCLE_1)
	s_and_not1_b32 vcc_lo, exec_lo, s27
	ds_store_b32 v9, v17
	s_wait_dscnt 0x0
	s_barrier_signal -1
	s_barrier_wait -1
	s_cbranch_vccnz .LBB0_27
; %bb.21:                               ;   in Loop: Header=BB0_18 Depth=2
	s_mov_b32 s6, 1
	s_branch .LBB0_23
.LBB0_22:                               ;   in Loop: Header=BB0_23 Depth=3
	s_or_b32 exec_lo, exec_lo, s7
	s_lshl_b32 s6, s6, 1
	s_wait_dscnt 0x0
	s_cmp_ge_u32 s6, s19
	s_barrier_signal -1
	s_barrier_wait -1
	s_cbranch_scc1 .LBB0_27
.LBB0_23:                               ;   Parent Loop BB0_3 Depth=1
                                        ;     Parent Loop BB0_18 Depth=2
                                        ; =>    This Inner Loop Header: Depth=3
	v_cmp_le_u32_e32 vcc_lo, s6, v0
	v_mov_b32_e32 v18, 0
	s_and_saveexec_b32 s7, vcc_lo
	s_cbranch_execz .LBB0_25
; %bb.24:                               ;   in Loop: Header=BB0_23 Depth=3
	v_subrev_nc_u32_e32 v18, s6, v0
	s_delay_alu instid0(VALU_DEP_1)
	v_lshlrev_b32_e32 v18, 2, v18
	ds_load_b32 v18, v18
	ds_load_b32 v19, v9
	s_wait_dscnt 0x0
	v_add_f32_e32 v18, v18, v19
.LBB0_25:                               ;   in Loop: Header=BB0_23 Depth=3
	s_or_b32 exec_lo, exec_lo, s7
	s_barrier_signal -1
	s_barrier_wait -1
	s_and_saveexec_b32 s7, vcc_lo
	s_cbranch_execz .LBB0_22
; %bb.26:                               ;   in Loop: Header=BB0_23 Depth=3
	ds_store_b32 v9, v18
	s_branch .LBB0_22
.LBB0_27:                               ;   in Loop: Header=BB0_18 Depth=2
	ds_load_b32 v18, v9
	v_mov_b32_e32 v19, v14
	s_and_saveexec_b32 s6, s4
	s_cbranch_execz .LBB0_29
; %bb.28:                               ;   in Loop: Header=BB0_18 Depth=2
	ds_load_b32 v19, v11
	s_wait_dscnt 0x0
	v_add_f32_e32 v19, v14, v19
.LBB0_29:                               ;   in Loop: Header=BB0_18 Depth=2
	s_or_b32 exec_lo, exec_lo, s6
	s_wait_dscnt 0x0
	v_add_f32_e32 v18, v14, v18
	s_delay_alu instid0(VALU_DEP_2) | instskip(SKIP_1) | instid1(VALU_DEP_3)
	v_cmp_ge_f32_e64 s6, v3, v19
	v_cmp_lt_f32_e64 s7, 0, v17
	v_cmp_nge_f32_e32 vcc_lo, v3, v18
	s_and_b32 s5, s5, vcc_lo
	s_delay_alu instid0(SALU_CYCLE_1) | instskip(NEXT) | instid1(SALU_CYCLE_1)
	s_and_b32 s5, s5, s6
	s_and_b32 s6, s5, s7
	s_delay_alu instid0(SALU_CYCLE_1)
	s_and_saveexec_b32 s5, s6
	s_cbranch_execz .LBB0_17
; %bb.30:                               ;   in Loop: Header=BB0_18 Depth=2
	s_mov_b32 s7, exec_lo
	s_brev_b32 s6, 1
.LBB0_31:                               ;   Parent Loop BB0_3 Depth=1
                                        ;     Parent Loop BB0_18 Depth=2
                                        ; =>    This Inner Loop Header: Depth=3
	s_ctz_i32_b32 s30, s7
	s_delay_alu instid0(SALU_CYCLE_1) | instskip(SKIP_1) | instid1(SALU_CYCLE_1)
	v_readlane_b32 s31, v16, s30
	s_lshl_b32 s30, 1, s30
	s_and_not1_b32 s7, s7, s30
	s_max_i32 s6, s6, s31
	s_cmp_lg_u32 s7, 0
	s_cbranch_scc1 .LBB0_31
; %bb.32:                               ;   in Loop: Header=BB0_18 Depth=2
	v_mbcnt_lo_u32_b32 v16, exec_lo, 0
	s_mov_b32 s7, exec_lo
	s_delay_alu instid0(VALU_DEP_1)
	v_cmpx_eq_u32_e32 0, v16
	s_xor_b32 s7, exec_lo, s7
	s_cbranch_execz .LBB0_16
; %bb.33:                               ;   in Loop: Header=BB0_18 Depth=2
	v_mov_b32_e32 v16, s6
	ds_max_i32 v12, v16 offset:1056
	s_branch .LBB0_16
.LBB0_34:                               ;   in Loop: Header=BB0_3 Depth=1
	s_xor_b32 s7, s5, -1
	s_mov_b32 s5, 0
	s_mov_b32 s6, 0
                                        ; implicit-def: $vgpr2
	s_and_saveexec_b32 s19, s3
	s_cbranch_execz .LBB0_43
; %bb.35:                               ;   in Loop: Header=BB0_3 Depth=1
	s_and_b32 vcc_lo, exec_lo, s7
	s_mov_b32 s6, s25
	s_mov_b32 s26, s17
	s_cbranch_vccnz .LBB0_38
; %bb.36:                               ;   in Loop: Header=BB0_3 Depth=1
	s_mov_b32 s6, 0
                                        ; implicit-def: $sgpr26
	v_mov_b32_e32 v2, s26
	s_cbranch_execnz .LBB0_41
	s_branch .LBB0_42
.LBB0_37:                               ;   in Loop: Header=BB0_38 Depth=2
	s_ashr_i32 s7, s6, 31
	s_add_co_i32 s26, s26, -1
	s_wait_xcnt 0x0
	s_lshl_b64 s[28:29], s[6:7], 2
	s_delay_alu instid0(SALU_CYCLE_1)
	s_add_nc_u64 s[28:29], s[10:11], s[28:29]
	s_load_b32 s7, s[28:29], 0x0
	s_wait_kmcnt 0x0
	s_cmp_gt_f32 s7, 0
	s_mov_b32 s7, 0
	s_cselect_b32 s27, -1, 0
	s_sub_co_i32 s6, s6, s13
	s_and_not1_b32 vcc_lo, exec_lo, s27
	s_cbranch_vccz .LBB0_40
.LBB0_38:                               ;   Parent Loop BB0_3 Depth=1
                                        ; =>  This Inner Loop Header: Depth=2
	s_cmp_lt_i32 s26, 1
	s_cbranch_scc0 .LBB0_37
; %bb.39:                               ;   in Loop: Header=BB0_3 Depth=1
	s_mov_b32 s7, -1
                                        ; implicit-def: $sgpr6
                                        ; implicit-def: $sgpr26
.LBB0_40:                               ;   in Loop: Header=BB0_3 Depth=1
	s_delay_alu instid0(SALU_CYCLE_1)
	s_xor_b32 s6, s7, -1
	v_mov_b32_e32 v2, s26
	s_branch .LBB0_42
.LBB0_41:                               ;   in Loop: Header=BB0_3 Depth=1
	ds_load_b32 v2, v12 offset:1056
	s_mov_b32 s6, -1
.LBB0_42:                               ;   in Loop: Header=BB0_3 Depth=1
	s_delay_alu instid0(SALU_CYCLE_1)
	s_and_b32 s6, s6, exec_lo
.LBB0_43:                               ;   in Loop: Header=BB0_3 Depth=1
	s_or_b32 exec_lo, exec_lo, s19
	s_delay_alu instid0(SALU_CYCLE_1)
	s_and_b32 vcc_lo, exec_lo, s5
	s_cbranch_vccz .LBB0_45
.LBB0_44:                               ;   in Loop: Header=BB0_3 Depth=1
	s_wait_dscnt 0x0
	v_mov_b32_e32 v2, 0
	s_and_not1_b32 s5, s6, exec_lo
	s_and_b32 s6, s3, exec_lo
	s_delay_alu instid0(SALU_CYCLE_1)
	s_or_b32 s6, s5, s6
.LBB0_45:                               ;   in Loop: Header=BB0_3 Depth=1
	s_delay_alu instid0(SALU_CYCLE_1)
	s_and_saveexec_b32 s5, s6
	s_cbranch_execz .LBB0_2
; %bb.46:                               ;   in Loop: Header=BB0_3 Depth=1
	v_mov_b32_e32 v3, s18
	s_wait_dscnt 0x0
	global_store_b32 v3, v2, s[20:21] scale_offset
	s_branch .LBB0_2
.LBB0_47:                               ;   in Loop: Header=BB0_3 Depth=1
	s_wait_xcnt 0x0
	s_mov_b32 s6, 0
                                        ; implicit-def: $vgpr2
	s_cbranch_execnz .LBB0_44
	s_branch .LBB0_45
.LBB0_48:
	s_endpgm
	.section	.rodata,"a",@progbits
	.p2align	6, 0x0
	.amdhsa_kernel _Z21sampleMultinomialOnceIffEvPiiiPKT_S3_ii
		.amdhsa_group_segment_fixed_size 1064
		.amdhsa_private_segment_fixed_size 0
		.amdhsa_kernarg_size 296
		.amdhsa_user_sgpr_count 2
		.amdhsa_user_sgpr_dispatch_ptr 0
		.amdhsa_user_sgpr_queue_ptr 0
		.amdhsa_user_sgpr_kernarg_segment_ptr 1
		.amdhsa_user_sgpr_dispatch_id 0
		.amdhsa_user_sgpr_kernarg_preload_length 0
		.amdhsa_user_sgpr_kernarg_preload_offset 0
		.amdhsa_user_sgpr_private_segment_size 0
		.amdhsa_wavefront_size32 1
		.amdhsa_uses_dynamic_stack 0
		.amdhsa_enable_private_segment 0
		.amdhsa_system_sgpr_workgroup_id_x 1
		.amdhsa_system_sgpr_workgroup_id_y 0
		.amdhsa_system_sgpr_workgroup_id_z 0
		.amdhsa_system_sgpr_workgroup_info 0
		.amdhsa_system_vgpr_workitem_id 0
		.amdhsa_next_free_vgpr 23
		.amdhsa_next_free_sgpr 32
		.amdhsa_named_barrier_count 0
		.amdhsa_reserve_vcc 1
		.amdhsa_float_round_mode_32 0
		.amdhsa_float_round_mode_16_64 0
		.amdhsa_float_denorm_mode_32 3
		.amdhsa_float_denorm_mode_16_64 3
		.amdhsa_fp16_overflow 0
		.amdhsa_memory_ordered 1
		.amdhsa_forward_progress 1
		.amdhsa_inst_pref_size 14
		.amdhsa_round_robin_scheduling 0
		.amdhsa_exception_fp_ieee_invalid_op 0
		.amdhsa_exception_fp_denorm_src 0
		.amdhsa_exception_fp_ieee_div_zero 0
		.amdhsa_exception_fp_ieee_overflow 0
		.amdhsa_exception_fp_ieee_underflow 0
		.amdhsa_exception_fp_ieee_inexact 0
		.amdhsa_exception_int_div_zero 0
	.end_amdhsa_kernel
	.section	.text._Z21sampleMultinomialOnceIffEvPiiiPKT_S3_ii,"axG",@progbits,_Z21sampleMultinomialOnceIffEvPiiiPKT_S3_ii,comdat
.Lfunc_end0:
	.size	_Z21sampleMultinomialOnceIffEvPiiiPKT_S3_ii, .Lfunc_end0-_Z21sampleMultinomialOnceIffEvPiiiPKT_S3_ii
                                        ; -- End function
	.set _Z21sampleMultinomialOnceIffEvPiiiPKT_S3_ii.num_vgpr, 23
	.set _Z21sampleMultinomialOnceIffEvPiiiPKT_S3_ii.num_agpr, 0
	.set _Z21sampleMultinomialOnceIffEvPiiiPKT_S3_ii.numbered_sgpr, 32
	.set _Z21sampleMultinomialOnceIffEvPiiiPKT_S3_ii.num_named_barrier, 0
	.set _Z21sampleMultinomialOnceIffEvPiiiPKT_S3_ii.private_seg_size, 0
	.set _Z21sampleMultinomialOnceIffEvPiiiPKT_S3_ii.uses_vcc, 1
	.set _Z21sampleMultinomialOnceIffEvPiiiPKT_S3_ii.uses_flat_scratch, 0
	.set _Z21sampleMultinomialOnceIffEvPiiiPKT_S3_ii.has_dyn_sized_stack, 0
	.set _Z21sampleMultinomialOnceIffEvPiiiPKT_S3_ii.has_recursion, 0
	.set _Z21sampleMultinomialOnceIffEvPiiiPKT_S3_ii.has_indirect_call, 0
	.section	.AMDGPU.csdata,"",@progbits
; Kernel info:
; codeLenInByte = 1792
; TotalNumSgprs: 34
; NumVgprs: 23
; ScratchSize: 0
; MemoryBound: 0
; FloatMode: 240
; IeeeMode: 1
; LDSByteSize: 1064 bytes/workgroup (compile time only)
; SGPRBlocks: 0
; VGPRBlocks: 1
; NumSGPRsForWavesPerEU: 34
; NumVGPRsForWavesPerEU: 23
; NamedBarCnt: 0
; Occupancy: 16
; WaveLimiterHint : 0
; COMPUTE_PGM_RSRC2:SCRATCH_EN: 0
; COMPUTE_PGM_RSRC2:USER_SGPR: 2
; COMPUTE_PGM_RSRC2:TRAP_HANDLER: 0
; COMPUTE_PGM_RSRC2:TGID_X_EN: 1
; COMPUTE_PGM_RSRC2:TGID_Y_EN: 0
; COMPUTE_PGM_RSRC2:TGID_Z_EN: 0
; COMPUTE_PGM_RSRC2:TIDIG_COMP_CNT: 0
	.section	.AMDGPU.gpr_maximums,"",@progbits
	.set amdgpu.max_num_vgpr, 0
	.set amdgpu.max_num_agpr, 0
	.set amdgpu.max_num_sgpr, 0
	.section	.AMDGPU.csdata,"",@progbits
	.type	__hip_cuid_2059440d2e433ed9,@object ; @__hip_cuid_2059440d2e433ed9
	.section	.bss,"aw",@nobits
	.globl	__hip_cuid_2059440d2e433ed9
__hip_cuid_2059440d2e433ed9:
	.byte	0                               ; 0x0
	.size	__hip_cuid_2059440d2e433ed9, 1

	.ident	"AMD clang version 22.0.0git (https://github.com/RadeonOpenCompute/llvm-project roc-7.2.4 26084 f58b06dce1f9c15707c5f808fd002e18c2accf7e)"
	.section	".note.GNU-stack","",@progbits
	.addrsig
	.addrsig_sym __hip_cuid_2059440d2e433ed9
	.amdgpu_metadata
---
amdhsa.kernels:
  - .args:
      - .address_space:  global
        .offset:         0
        .size:           8
        .value_kind:     global_buffer
      - .offset:         8
        .size:           4
        .value_kind:     by_value
      - .offset:         12
        .size:           4
        .value_kind:     by_value
      - .actual_access:  read_only
        .address_space:  global
        .offset:         16
        .size:           8
        .value_kind:     global_buffer
      - .actual_access:  read_only
        .address_space:  global
        .offset:         24
        .size:           8
        .value_kind:     global_buffer
      - .offset:         32
        .size:           4
        .value_kind:     by_value
      - .offset:         36
        .size:           4
        .value_kind:     by_value
      - .offset:         40
        .size:           4
        .value_kind:     hidden_block_count_x
      - .offset:         44
        .size:           4
        .value_kind:     hidden_block_count_y
      - .offset:         48
        .size:           4
        .value_kind:     hidden_block_count_z
      - .offset:         52
        .size:           2
        .value_kind:     hidden_group_size_x
      - .offset:         54
        .size:           2
        .value_kind:     hidden_group_size_y
      - .offset:         56
        .size:           2
        .value_kind:     hidden_group_size_z
      - .offset:         58
        .size:           2
        .value_kind:     hidden_remainder_x
      - .offset:         60
        .size:           2
        .value_kind:     hidden_remainder_y
      - .offset:         62
        .size:           2
        .value_kind:     hidden_remainder_z
      - .offset:         80
        .size:           8
        .value_kind:     hidden_global_offset_x
      - .offset:         88
        .size:           8
        .value_kind:     hidden_global_offset_y
      - .offset:         96
        .size:           8
        .value_kind:     hidden_global_offset_z
      - .offset:         104
        .size:           2
        .value_kind:     hidden_grid_dims
    .group_segment_fixed_size: 1064
    .kernarg_segment_align: 8
    .kernarg_segment_size: 296
    .language:       OpenCL C
    .language_version:
      - 2
      - 0
    .max_flat_workgroup_size: 1024
    .name:           _Z21sampleMultinomialOnceIffEvPiiiPKT_S3_ii
    .private_segment_fixed_size: 0
    .sgpr_count:     34
    .sgpr_spill_count: 0
    .symbol:         _Z21sampleMultinomialOnceIffEvPiiiPKT_S3_ii.kd
    .uniform_work_group_size: 1
    .uses_dynamic_stack: false
    .vgpr_count:     23
    .vgpr_spill_count: 0
    .wavefront_size: 32
amdhsa.target:   amdgcn-amd-amdhsa--gfx1250
amdhsa.version:
  - 1
  - 2
...

	.end_amdgpu_metadata
